;; amdgpu-corpus repo=ROCm/rocFFT kind=compiled arch=gfx1030 opt=O3
	.text
	.amdgcn_target "amdgcn-amd-amdhsa--gfx1030"
	.amdhsa_code_object_version 6
	.protected	fft_rtc_fwd_len96_factors_8_3_4_wgs_256_tpt_32_sp_op_CI_CI_sbcc_twdbase5_3step_dirReg_intrinsicReadWrite ; -- Begin function fft_rtc_fwd_len96_factors_8_3_4_wgs_256_tpt_32_sp_op_CI_CI_sbcc_twdbase5_3step_dirReg_intrinsicReadWrite
	.globl	fft_rtc_fwd_len96_factors_8_3_4_wgs_256_tpt_32_sp_op_CI_CI_sbcc_twdbase5_3step_dirReg_intrinsicReadWrite
	.p2align	8
	.type	fft_rtc_fwd_len96_factors_8_3_4_wgs_256_tpt_32_sp_op_CI_CI_sbcc_twdbase5_3step_dirReg_intrinsicReadWrite,@function
fft_rtc_fwd_len96_factors_8_3_4_wgs_256_tpt_32_sp_op_CI_CI_sbcc_twdbase5_3step_dirReg_intrinsicReadWrite: ; @fft_rtc_fwd_len96_factors_8_3_4_wgs_256_tpt_32_sp_op_CI_CI_sbcc_twdbase5_3step_dirReg_intrinsicReadWrite
; %bb.0:
	s_clause 0x1
	s_load_dwordx8 s[8:15], s[4:5], 0x8
	s_load_dwordx2 s[28:29], s[4:5], 0x28
	v_cmp_lt_u32_e64 s0, 0x5f, v0
	s_mov_b32 s1, exec_lo
	v_cmpx_gt_u32_e32 0x60, v0
	s_cbranch_execz .LBB0_2
; %bb.1:
	v_lshlrev_b32_e32 v3, 3, v0
	s_waitcnt lgkmcnt(0)
	global_load_dwordx2 v[1:2], v3, s[8:9]
	v_add_nc_u32_e32 v3, 0, v3
	s_waitcnt vmcnt(0)
	ds_write_b64 v3, v[1:2] offset:6144
.LBB0_2:
	s_or_b32 exec_lo, exec_lo, s1
	s_waitcnt lgkmcnt(0)
	s_load_dwordx2 s[30:31], s[12:13], 0x8
	s_mov_b32 s7, 0
	s_mov_b64 s[8:9], 0
	s_waitcnt lgkmcnt(0)
	s_add_u32 s2, s30, -1
	s_addc_u32 s3, s31, -1
	s_lshr_b64 s[2:3], s[2:3], 3
	s_add_u32 s34, s2, 1
	s_addc_u32 s35, s3, 0
	v_cmp_lt_u64_e64 s1, s[6:7], s[34:35]
	s_and_b32 vcc_lo, exec_lo, s1
	s_cbranch_vccnz .LBB0_4
; %bb.3:
	v_cvt_f32_u32_e32 v1, s34
	s_sub_i32 s2, 0, s34
	s_mov_b32 s9, s7
	v_rcp_iflag_f32_e32 v1, v1
	v_mul_f32_e32 v1, 0x4f7ffffe, v1
	v_cvt_u32_f32_e32 v1, v1
	v_readfirstlane_b32 s1, v1
	s_mul_i32 s2, s2, s1
	s_mul_hi_u32 s2, s1, s2
	s_add_i32 s1, s1, s2
	s_mul_hi_u32 s1, s6, s1
	s_mul_i32 s2, s1, s34
	s_add_i32 s3, s1, 1
	s_sub_i32 s2, s6, s2
	s_sub_i32 s8, s2, s34
	s_cmp_ge_u32 s2, s34
	s_cselect_b32 s1, s3, s1
	s_cselect_b32 s2, s8, s2
	s_add_i32 s3, s1, 1
	s_cmp_ge_u32 s2, s34
	s_cselect_b32 s8, s3, s1
.LBB0_4:
	s_load_dwordx4 s[24:27], s[14:15], 0x0
	s_load_dwordx4 s[20:23], s[28:29], 0x0
	s_mul_i32 s1, s8, s35
	s_mul_hi_u32 s2, s8, s34
	s_mul_i32 s3, s8, s34
	s_add_i32 s2, s2, s1
	s_sub_u32 s36, s6, s3
	s_subb_u32 s37, 0, s2
	s_clause 0x1
	s_load_dwordx4 s[16:19], s[4:5], 0x60
	s_load_dwordx2 s[2:3], s[4:5], 0x0
	v_alignbit_b32 v1, s37, s36, 29
	s_lshl_b64 s[4:5], s[36:37], 3
	v_cmp_lt_u64_e64 s1, s[10:11], 3
	s_and_b32 vcc_lo, exec_lo, s1
	s_waitcnt lgkmcnt(0)
	v_mul_lo_u32 v2, s26, v1
	v_mul_lo_u32 v1, s22, v1
	s_mul_hi_u32 s21, s26, s4
	s_mul_hi_u32 s33, s22, s4
	s_mul_i32 s25, s27, s4
	s_mul_i32 s27, s26, s4
	;; [unrolled: 1-line block ×3, first 2 shown]
	v_add_nc_u32_e32 v2, s21, v2
	v_add_nc_u32_e32 v3, s33, v1
	s_mul_i32 s21, s22, s4
	v_mov_b32_e32 v1, s27
	v_mov_b32_e32 v14, s21
	v_add_nc_u32_e32 v2, s25, v2
	v_add_nc_u32_e32 v3, s23, v3
	s_cbranch_vccnz .LBB0_13
; %bb.5:
	s_add_u32 s36, s28, 16
	s_addc_u32 s37, s29, 0
	s_add_u32 s38, s14, 16
	s_addc_u32 s39, s15, 0
	;; [unrolled: 2-line block ×3, first 2 shown]
	s_mov_b64 s[40:41], 2
	s_mov_b32 s42, 0
	s_branch .LBB0_7
.LBB0_6:                                ;   in Loop: Header=BB0_7 Depth=1
	s_load_dwordx2 s[48:49], s[38:39], 0x0
	s_load_dwordx2 s[50:51], s[36:37], 0x0
	s_mul_i32 s1, s44, s35
	s_mul_hi_u32 s21, s44, s34
	s_mul_i32 s25, s46, s45
	s_mul_hi_u32 s27, s46, s44
	s_mul_i32 s23, s45, s34
	s_mul_i32 s33, s47, s44
	s_add_i32 s1, s21, s1
	s_add_i32 s21, s27, s25
	s_mul_i32 s43, s46, s44
	s_add_i32 s35, s1, s23
	s_add_i32 s21, s21, s33
	s_sub_u32 s1, s8, s43
	s_subb_u32 s8, s9, s21
	s_mul_i32 s34, s44, s34
	s_waitcnt lgkmcnt(0)
	s_mul_i32 s9, s48, s8
	s_mul_hi_u32 s21, s48, s1
	s_mul_i32 s8, s50, s8
	s_mul_hi_u32 s27, s50, s1
	s_mul_i32 s23, s49, s1
	s_add_i32 s9, s21, s9
	s_add_i32 s8, s27, s8
	s_mul_i32 s21, s51, s1
	s_mul_i32 s25, s48, s1
	s_add_i32 s9, s9, s23
	s_add_i32 s8, s8, s21
	v_add_co_u32 v1, vcc_lo, s25, v1
	s_add_u32 s40, s40, 1
	s_mul_i32 s1, s50, s1
	s_addc_u32 s41, s41, 0
	v_add_co_ci_u32_e32 v2, vcc_lo, s9, v2, vcc_lo
	v_add_co_u32 v14, vcc_lo, s1, v14
	v_cmp_ge_u64_e64 s1, s[40:41], s[10:11]
	s_add_u32 s36, s36, 8
	s_addc_u32 s37, s37, 0
	v_add_co_ci_u32_e32 v3, vcc_lo, s8, v3, vcc_lo
	s_add_u32 s38, s38, 8
	s_addc_u32 s39, s39, 0
	s_add_u32 s12, s12, 8
	s_addc_u32 s13, s13, 0
	s_and_b32 vcc_lo, exec_lo, s1
	s_mov_b64 s[8:9], s[46:47]
	s_cbranch_vccnz .LBB0_11
.LBB0_7:                                ; =>This Inner Loop Header: Depth=1
	s_load_dwordx2 s[44:45], s[12:13], 0x0
	s_mov_b32 s1, -1
	s_waitcnt lgkmcnt(0)
	s_or_b64 s[46:47], s[8:9], s[44:45]
	s_mov_b32 s43, s47
                                        ; implicit-def: $sgpr46_sgpr47
	s_cmp_lg_u64 s[42:43], 0
	s_cbranch_scc0 .LBB0_9
; %bb.8:                                ;   in Loop: Header=BB0_7 Depth=1
	v_cvt_f32_u32_e32 v4, s44
	v_cvt_f32_u32_e32 v5, s45
	s_sub_u32 s23, 0, s44
	s_subb_u32 s25, 0, s45
	v_fmac_f32_e32 v4, 0x4f800000, v5
	v_rcp_f32_e32 v4, v4
	v_mul_f32_e32 v4, 0x5f7ffffc, v4
	v_mul_f32_e32 v5, 0x2f800000, v4
	v_trunc_f32_e32 v5, v5
	v_fmac_f32_e32 v4, 0xcf800000, v5
	v_cvt_u32_f32_e32 v5, v5
	v_cvt_u32_f32_e32 v4, v4
	v_readfirstlane_b32 s1, v5
	v_readfirstlane_b32 s21, v4
	s_mul_i32 s27, s23, s1
	s_mul_hi_u32 s43, s23, s21
	s_mul_i32 s33, s25, s21
	s_add_i32 s27, s43, s27
	s_mul_i32 s46, s23, s21
	s_add_i32 s27, s27, s33
	s_mul_hi_u32 s43, s21, s46
	s_mul_hi_u32 s47, s1, s46
	s_mul_i32 s33, s1, s46
	s_mul_hi_u32 s46, s21, s27
	s_mul_i32 s21, s21, s27
	s_mul_hi_u32 s48, s1, s27
	s_add_u32 s21, s43, s21
	s_addc_u32 s43, 0, s46
	s_add_u32 s21, s21, s33
	s_mul_i32 s27, s1, s27
	s_addc_u32 s21, s43, s47
	s_addc_u32 s33, s48, 0
	s_add_u32 s21, s21, s27
	s_addc_u32 s27, 0, s33
	v_add_co_u32 v4, s21, v4, s21
	s_cmp_lg_u32 s21, 0
	s_addc_u32 s1, s1, s27
	v_readfirstlane_b32 s21, v4
	s_mul_i32 s27, s23, s1
	s_mul_hi_u32 s33, s23, s21
	s_mul_i32 s25, s25, s21
	s_add_i32 s27, s33, s27
	s_mul_i32 s23, s23, s21
	s_add_i32 s27, s27, s25
	s_mul_hi_u32 s33, s1, s23
	s_mul_i32 s43, s1, s23
	s_mul_hi_u32 s23, s21, s23
	s_mul_hi_u32 s46, s21, s27
	s_mul_i32 s21, s21, s27
	s_mul_hi_u32 s25, s1, s27
	s_add_u32 s21, s23, s21
	s_addc_u32 s23, 0, s46
	s_add_u32 s21, s21, s43
	s_mul_i32 s27, s1, s27
	s_addc_u32 s21, s23, s33
	s_addc_u32 s23, s25, 0
	s_add_u32 s21, s21, s27
	s_addc_u32 s23, 0, s23
	v_add_co_u32 v4, s21, v4, s21
	s_cmp_lg_u32 s21, 0
	s_addc_u32 s1, s1, s23
	v_readfirstlane_b32 s21, v4
	s_mul_i32 s25, s8, s1
	s_mul_hi_u32 s23, s8, s1
	s_mul_hi_u32 s27, s9, s1
	s_mul_i32 s1, s9, s1
	s_mul_hi_u32 s33, s8, s21
	s_mul_hi_u32 s43, s9, s21
	s_mul_i32 s21, s9, s21
	s_add_u32 s25, s33, s25
	s_addc_u32 s23, 0, s23
	s_add_u32 s21, s25, s21
	s_addc_u32 s21, s23, s43
	s_addc_u32 s23, s27, 0
	s_add_u32 s21, s21, s1
	s_addc_u32 s23, 0, s23
	s_mul_hi_u32 s1, s44, s21
	s_mul_i32 s27, s44, s23
	s_mul_i32 s33, s44, s21
	s_add_i32 s1, s1, s27
	v_sub_co_u32 v4, s27, s8, s33
	s_mul_i32 s25, s45, s21
	s_add_i32 s1, s1, s25
	v_sub_co_u32 v5, s33, v4, s44
	s_sub_i32 s25, s9, s1
	s_cmp_lg_u32 s27, 0
	s_subb_u32 s25, s25, s45
	s_cmp_lg_u32 s33, 0
	v_readfirstlane_b32 s33, v5
	s_subb_u32 s25, s25, 0
	s_cmp_ge_u32 s25, s45
	s_cselect_b32 s43, -1, 0
	s_cmp_ge_u32 s33, s44
	s_cselect_b32 s33, -1, 0
	s_cmp_eq_u32 s25, s45
	s_cselect_b32 s25, s33, s43
	s_add_u32 s33, s21, 1
	s_addc_u32 s43, s23, 0
	s_add_u32 s46, s21, 2
	s_addc_u32 s47, s23, 0
	s_cmp_lg_u32 s25, 0
	s_cselect_b32 s25, s46, s33
	s_cselect_b32 s33, s47, s43
	s_cmp_lg_u32 s27, 0
	v_readfirstlane_b32 s27, v4
	s_subb_u32 s1, s9, s1
	s_cmp_ge_u32 s1, s45
	s_cselect_b32 s43, -1, 0
	s_cmp_ge_u32 s27, s44
	s_cselect_b32 s27, -1, 0
	s_cmp_eq_u32 s1, s45
	s_cselect_b32 s1, s27, s43
	s_cmp_lg_u32 s1, 0
	s_mov_b32 s1, 0
	s_cselect_b32 s47, s33, s23
	s_cselect_b32 s46, s25, s21
.LBB0_9:                                ;   in Loop: Header=BB0_7 Depth=1
	s_andn2_b32 vcc_lo, exec_lo, s1
	s_cbranch_vccnz .LBB0_6
; %bb.10:                               ;   in Loop: Header=BB0_7 Depth=1
	v_cvt_f32_u32_e32 v4, s44
	s_sub_i32 s21, 0, s44
	s_mov_b32 s47, s42
	v_rcp_iflag_f32_e32 v4, v4
	v_mul_f32_e32 v4, 0x4f7ffffe, v4
	v_cvt_u32_f32_e32 v4, v4
	v_readfirstlane_b32 s1, v4
	s_mul_i32 s21, s21, s1
	s_mul_hi_u32 s21, s1, s21
	s_add_i32 s1, s1, s21
	s_mul_hi_u32 s1, s8, s1
	s_mul_i32 s21, s1, s44
	s_add_i32 s23, s1, 1
	s_sub_i32 s21, s8, s21
	s_sub_i32 s25, s21, s44
	s_cmp_ge_u32 s21, s44
	s_cselect_b32 s1, s23, s1
	s_cselect_b32 s21, s25, s21
	s_add_i32 s23, s1, 1
	s_cmp_ge_u32 s21, s44
	s_cselect_b32 s46, s23, s1
	s_branch .LBB0_6
.LBB0_11:
	v_cmp_lt_u64_e64 s1, s[6:7], s[34:35]
	s_mov_b64 s[8:9], 0
	s_and_b32 vcc_lo, exec_lo, s1
	s_cbranch_vccnz .LBB0_13
; %bb.12:
	v_cvt_f32_u32_e32 v2, s34
	s_sub_i32 s7, 0, s34
	v_rcp_iflag_f32_e32 v2, v2
	v_mul_f32_e32 v2, 0x4f7ffffe, v2
	v_cvt_u32_f32_e32 v2, v2
	v_readfirstlane_b32 s1, v2
	s_mul_i32 s7, s7, s1
	s_mul_hi_u32 s7, s1, s7
	s_add_i32 s1, s1, s7
	s_mul_hi_u32 s1, s6, s1
	s_mul_i32 s7, s1, s34
	s_sub_i32 s6, s6, s7
	s_add_i32 s7, s1, 1
	s_sub_i32 s8, s6, s34
	s_cmp_ge_u32 s6, s34
	s_cselect_b32 s1, s7, s1
	s_cselect_b32 s6, s8, s6
	s_add_i32 s7, s1, 1
	s_cmp_ge_u32 s6, s34
	s_cselect_b32 s8, s7, s1
.LBB0_13:
	s_lshl_b64 s[6:7], s[10:11], 3
	v_and_b32_e32 v15, 7, v0
	s_add_u32 s12, s14, s6
	s_addc_u32 s13, s15, s7
	v_mov_b32_e32 v10, s5
	s_load_dword s12, s[12:13], 0x0
	v_or_b32_e32 v9, s4, v15
	v_cmp_gt_u32_e64 s1, 0x60, v0
	s_add_u32 s10, s28, s6
	s_addc_u32 s11, s29, s7
	s_add_u32 s6, s4, 8
	s_addc_u32 s7, s5, 0
	v_cndmask_b32_e64 v2, 0, 1, s1
	v_cmp_gt_u64_e64 s1, s[30:31], v[9:10]
	v_cmp_le_u64_e64 s9, s[6:7], s[30:31]
	v_cmp_lt_u32_e32 vcc_lo, 0x5f, v0
	v_lshrrev_b32_e32 v17, 3, v0
	v_mul_lo_u32 v3, s26, v15
	s_mov_b32 s7, 0x31014000
	v_cndmask_b32_e64 v16, 0, 1, s1
	s_or_b32 vcc_lo, vcc_lo, s9
	v_mul_lo_u32 v4, s24, v17
	v_add_nc_u32_e32 v6, 24, v17
	v_add_nc_u32_e32 v5, 12, v17
	v_cndmask_b32_e32 v2, v16, v2, vcc_lo
	s_waitcnt lgkmcnt(0)
	s_mul_i32 s12, s12, s8
	v_add_nc_u32_e32 v8, 60, v17
	v_add_nc_u32_e32 v1, s12, v1
	v_mul_lo_u32 v6, s24, v6
	v_and_b32_e32 v2, 1, v2
	v_mul_lo_u32 v5, s24, v5
	v_add_lshl_u32 v4, v3, v4, 3
	v_lshlrev_b32_e32 v1, 3, v1
	v_add_nc_u32_e32 v7, 36, v17
	v_cmp_eq_u32_e32 vcc_lo, 1, v2
	v_add_nc_u32_e32 v11, 0x54, v17
	s_mov_b32 s6, -2
	v_readfirstlane_b32 s1, v1
	v_add_lshl_u32 v1, v3, v5, 3
	v_cndmask_b32_e32 v2, -1, v4, vcc_lo
	v_add_lshl_u32 v4, v3, v6, 3
	v_add_nc_u32_e32 v5, 48, v17
	v_add_nc_u32_e32 v6, 0x48, v17
	s_mov_b32 s4, s16
	s_mov_b32 s5, s17
	v_cndmask_b32_e32 v4, -1, v4, vcc_lo
	v_mul_lo_u32 v10, s24, v5
	v_mul_lo_u32 v12, s24, v6
	;; [unrolled: 1-line block ×4, first 2 shown]
	s_clause 0x1
	buffer_load_dwordx2 v[5:6], v2, s[4:7], s1 offen
	buffer_load_dwordx2 v[7:8], v4, s[4:7], s1 offen
	v_mul_lo_u32 v2, s24, v11
	v_cndmask_b32_e32 v11, -1, v1, vcc_lo
	v_add_lshl_u32 v1, v3, v10, 3
	v_add_lshl_u32 v4, v3, v12, 3
	;; [unrolled: 1-line block ×4, first 2 shown]
	v_cndmask_b32_e32 v1, -1, v1, vcc_lo
	v_add_lshl_u32 v3, v3, v2, 3
	v_cndmask_b32_e32 v4, -1, v4, vcc_lo
	v_cndmask_b32_e32 v12, -1, v12, vcc_lo
	;; [unrolled: 1-line block ×3, first 2 shown]
	buffer_load_dwordx2 v[1:2], v1, s[4:7], s1 offen
	v_cndmask_b32_e32 v20, -1, v3, vcc_lo
	s_clause 0x4
	buffer_load_dwordx2 v[3:4], v4, s[4:7], s1 offen
	buffer_load_dwordx2 v[10:11], v11, s[4:7], s1 offen
	;; [unrolled: 1-line block ×5, first 2 shown]
	s_waitcnt vmcnt(4)
	v_sub_f32_e32 v26, v7, v3
	v_sub_f32_e32 v30, v8, v4
	;; [unrolled: 1-line block ×4, first 2 shown]
	s_waitcnt vmcnt(2)
	v_sub_f32_e32 v24, v10, v18
	v_sub_f32_e32 v25, v11, v19
	s_waitcnt vmcnt(0)
	v_sub_f32_e32 v28, v13, v28
	v_sub_f32_e32 v31, v12, v27
	;; [unrolled: 1-line block ×3, first 2 shown]
	v_add_f32_e32 v23, v22, v26
	v_lshlrev_b32_e32 v18, 6, v17
	v_sub_f32_e32 v27, v24, v28
	v_add_f32_e32 v29, v25, v31
	v_fmamk_f32 v1, v27, 0x3f3504f3, v21
	v_fmamk_f32 v2, v29, 0x3f3504f3, v23
	v_fmamk_f32 v1, v29, 0xbf3504f3, v1
	v_fmac_f32_e32 v2, 0x3f3504f3, v27
	s_and_saveexec_b32 s1, s0
	s_xor_b32 s0, exec_lo, s1
; %bb.14:
	v_lshlrev_b32_e32 v18, 6, v17
                                        ; implicit-def: $vgpr20
                                        ; implicit-def: $vgpr22
                                        ; implicit-def: $vgpr26
                                        ; implicit-def: $vgpr30
                                        ; implicit-def: $vgpr24
                                        ; implicit-def: $vgpr25
                                        ; implicit-def: $vgpr31
                                        ; implicit-def: $vgpr28
                                        ; implicit-def: $vgpr27
                                        ; implicit-def: $vgpr29
                                        ; implicit-def: $vgpr5_vgpr6
                                        ; implicit-def: $vgpr10_vgpr11
                                        ; implicit-def: $vgpr7_vgpr8
                                        ; implicit-def: $vgpr12_vgpr13
; %bb.15:
	s_or_saveexec_b32 s0, s0
	v_fma_f32 v3, v21, 2.0, -v1
	v_fma_f32 v4, v23, 2.0, -v2
	v_lshlrev_b32_e32 v19, 3, v15
	s_xor_b32 exec_lo, exec_lo, s0
	s_cbranch_execz .LBB0_17
; %bb.16:
	v_fma_f32 v32, v6, 2.0, -v22
	v_fma_f32 v6, v8, 2.0, -v30
	;; [unrolled: 1-line block ×6, first 2 shown]
	v_sub_f32_e32 v12, v32, v6
	v_fma_f32 v11, v11, 2.0, -v25
	v_sub_f32_e32 v31, v30, v8
	v_fma_f32 v10, v13, 2.0, -v28
	v_fma_f32 v22, v22, 2.0, -v23
	;; [unrolled: 1-line block ×4, first 2 shown]
	v_add_f32_e32 v6, v12, v31
	v_fma_f32 v20, v20, 2.0, -v21
	v_sub_f32_e32 v21, v11, v10
	v_sub_f32_e32 v7, v5, v7
	v_fmamk_f32 v24, v23, 0xbf3504f3, v22
	v_fma_f32 v8, v12, 2.0, -v6
	v_fmamk_f32 v10, v13, 0xbf3504f3, v20
	v_fma_f32 v25, v32, 2.0, -v12
	v_fma_f32 v12, v11, 2.0, -v21
	;; [unrolled: 1-line block ×4, first 2 shown]
	v_fmamk_f32 v11, v13, 0x3f3504f3, v24
	v_fmac_f32_e32 v10, 0xbf3504f3, v23
	v_sub_f32_e32 v13, v25, v12
	v_lshlrev_b32_e32 v24, 9, v17
	v_sub_f32_e32 v12, v26, v27
	v_sub_f32_e32 v5, v7, v21
	v_fma_f32 v21, v22, 2.0, -v11
	v_fma_f32 v20, v20, 2.0, -v10
	;; [unrolled: 1-line block ×4, first 2 shown]
	v_add3_u32 v24, 0, v24, v19
	v_fma_f32 v7, v7, 2.0, -v5
	ds_write2_b64 v24, v[22:23], v[20:21] offset1:8
	ds_write2_b64 v24, v[7:8], v[3:4] offset0:16 offset1:24
	ds_write2_b64 v24, v[12:13], v[10:11] offset0:32 offset1:40
	ds_write2_b64 v24, v[5:6], v[1:2] offset0:48 offset1:56
.LBB0_17:
	s_or_b32 exec_lo, exec_lo, s0
	v_bfe_u32 v11, v0, 3, 3
	s_load_dwordx2 s[0:1], s[10:11], 0x0
	s_waitcnt lgkmcnt(0)
	s_barrier
	buffer_gl0_inv
	v_lshlrev_b32_e32 v1, 4, v11
	v_add3_u32 v10, 0, v18, v19
	v_lshrrev_b32_e32 v12, 6, v0
	v_cmp_lt_u32_e32 vcc_lo, 0xbf, v0
	global_load_dwordx4 v[5:8], v1, s[2:3]
	ds_read2st64_b64 v[20:23], v10 offset1:4
	ds_read_b64 v[1:2], v10 offset:4096
	v_mul_u32_u24_e32 v12, 24, v12
	s_waitcnt vmcnt(0) lgkmcnt(0)
	s_barrier
	buffer_gl0_inv
	v_or_b32_e32 v11, v12, v11
	v_lshlrev_b32_e32 v11, 6, v11
	v_add3_u32 v11, 0, v11, v19
	v_mul_f32_e32 v12, v6, v23
	v_mul_f32_e32 v13, v8, v2
	;; [unrolled: 1-line block ×4, first 2 shown]
	v_fma_f32 v5, v5, v22, -v12
	v_fma_f32 v12, v7, v1, -v13
	v_fmac_f32_e32 v18, v6, v22
	v_fmac_f32_e32 v8, v7, v2
	v_add_f32_e32 v6, v5, v20
	v_add_f32_e32 v1, v5, v12
	;; [unrolled: 1-line block ×4, first 2 shown]
	v_sub_f32_e32 v13, v18, v8
	v_sub_f32_e32 v18, v5, v12
	v_fma_f32 v1, -0.5, v1, v20
	v_add_f32_e32 v5, v6, v12
	v_fma_f32 v2, -0.5, v2, v21
	v_add_f32_e32 v6, v7, v8
	v_fmamk_f32 v7, v13, 0x3f5db3d7, v1
	v_fmac_f32_e32 v1, 0xbf5db3d7, v13
	v_fmamk_f32 v8, v18, 0xbf5db3d7, v2
	v_fmac_f32_e32 v2, 0x3f5db3d7, v18
	ds_write2st64_b64 v11, v[5:6], v[7:8] offset1:1
	ds_write_b64 v11, v[1:2] offset:1024
	s_waitcnt lgkmcnt(0)
	s_barrier
	buffer_gl0_inv
	s_and_saveexec_b32 s1, vcc_lo
	s_xor_b32 s1, exec_lo, s1
; %bb.18:
                                        ; implicit-def: $vgpr10
; %bb.19:
	s_andn2_saveexec_b32 s1, s1
	s_cbranch_execz .LBB0_21
; %bb.20:
	ds_read2st64_b64 v[5:8], v10 offset1:3
	ds_read2st64_b64 v[1:4], v10 offset0:6 offset1:9
.LBB0_21:
	s_or_b32 exec_lo, exec_lo, s1
	v_mul_hi_u32 v10, 0xaaaaaab, v17
	v_mul_hi_u32 v20, 0x1555556, v0
	v_cmp_lt_u32_e32 vcc_lo, 0xbf, v0
	v_mul_lo_u32 v21, v9, 24
	v_mul_lo_u32 v15, s22, v15
	s_add_i32 s1, 0, 0x1800
	s_or_b32 vcc_lo, vcc_lo, s9
	v_mul_u32_u24_e32 v10, 24, v10
	v_mul_u32_u24_e32 v20, 0x60, v20
	v_sub_nc_u32_e32 v19, v17, v10
	v_mul_u32_u24_e32 v10, 3, v19
	v_mul_lo_u32 v9, v19, v9
	v_lshlrev_b32_e32 v17, 3, v10
	s_clause 0x1
	global_load_dwordx4 v[10:13], v17, s[2:3] offset:128
	global_load_dwordx2 v[17:18], v17, s[2:3] offset:144
	s_mul_i32 s2, s0, s8
	v_cmp_gt_u32_e64 s0, 0xc0, v0
	v_add_nc_u32_e32 v14, s2, v14
	v_and_b32_e32 v22, 31, v9
	v_lshrrev_b32_e32 v23, 2, v9
	v_lshrrev_b32_e32 v24, 7, v9
	v_cndmask_b32_e64 v0, 0, 1, s0
	v_lshlrev_b32_e32 v14, 3, v14
	v_add_nc_u32_e32 v9, v9, v21
	v_and_b32_e32 v23, 0xf8, v23
	v_and_b32_e32 v24, 0xf8, v24
	v_cndmask_b32_e32 v0, v16, v0, vcc_lo
	v_or_b32_e32 v16, v20, v19
	v_readfirstlane_b32 s4, v14
	v_lshrrev_b32_e32 v26, 2, v9
	v_and_b32_e32 v25, 31, v9
	v_and_b32_e32 v0, 1, v0
	v_mul_lo_u32 v14, s20, v16
	v_add_nc_u32_e32 v19, 24, v16
	v_add_nc_u32_e32 v20, 48, v16
	;; [unrolled: 1-line block ×3, first 2 shown]
	v_lshrrev_b32_e32 v27, 7, v9
	v_add_nc_u32_e32 v9, v9, v21
	v_mul_lo_u32 v19, s20, v19
	v_mul_lo_u32 v20, s20, v20
	;; [unrolled: 1-line block ×3, first 2 shown]
	v_lshl_add_u32 v22, v22, 3, 0
	v_add_lshl_u32 v14, v15, v14, 3
	v_and_b32_e32 v26, 0xf8, v26
	v_cmp_eq_u32_e32 vcc_lo, 1, v0
	v_add_nc_u32_e32 v23, s1, v23
	v_add_nc_u32_e32 v24, s1, v24
	v_and_b32_e32 v28, 31, v9
	v_lshrrev_b32_e32 v29, 2, v9
	v_lshl_add_u32 v25, v25, 3, 0
	v_and_b32_e32 v27, 0xf8, v27
	v_lshrrev_b32_e32 v30, 7, v9
	v_add_nc_u32_e32 v9, v9, v21
	v_cndmask_b32_e32 v39, -1, v14, vcc_lo
	v_add_lshl_u32 v0, v15, v19, 3
	v_add_lshl_u32 v31, v15, v20, 3
	;; [unrolled: 1-line block ×3, first 2 shown]
	ds_read_b64 v[14:15], v22 offset:6144
	ds_read_b64 v[19:20], v23 offset:256
	;; [unrolled: 1-line block ×4, first 2 shown]
	v_add_nc_u32_e32 v25, s1, v26
	v_lshl_add_u32 v32, v28, 3, 0
	v_and_b32_e32 v28, 0xf8, v29
	v_add_nc_u32_e32 v27, s1, v27
	v_and_b32_e32 v29, 0xf8, v30
	v_lshrrev_b32_e32 v30, 2, v9
	ds_read_b64 v[25:26], v25 offset:256
	v_cndmask_b32_e32 v40, -1, v0, vcc_lo
	v_add_nc_u32_e32 v0, s1, v28
	v_cndmask_b32_e32 v41, -1, v31, vcc_lo
	v_add_nc_u32_e32 v34, s1, v29
	v_and_b32_e32 v35, 0xf8, v30
	ds_read_b64 v[27:28], v27 offset:512
	ds_read_b64 v[29:30], v32 offset:6144
	ds_read_b64 v[31:32], v0 offset:256
	v_and_b32_e32 v33, 31, v9
	v_lshrrev_b32_e32 v9, 7, v9
	s_mov_b32 s3, 0x31014000
	v_add_nc_u32_e32 v37, s1, v35
	s_waitcnt lgkmcnt(6)
	v_mul_f32_e32 v42, v15, v20
	v_lshl_add_u32 v0, v33, 3, 0
	v_and_b32_e32 v9, 0xf8, v9
	v_mul_f32_e32 v20, v14, v20
	ds_read_b64 v[33:34], v34 offset:512
	ds_read_b64 v[35:36], v0 offset:6144
	ds_read_b64 v[37:38], v37 offset:256
	s_mov_b32 s2, -2
	v_add_nc_u32_e32 v0, s1, v9
	v_fmac_f32_e32 v20, v15, v19
	v_fma_f32 v9, v14, v19, -v42
	s_waitcnt lgkmcnt(6)
	v_mul_f32_e32 v19, v24, v26
	v_mul_f32_e32 v26, v23, v26
	ds_read_b64 v[14:15], v0 offset:512
	v_mul_f32_e32 v0, v20, v22
	v_mul_f32_e32 v22, v9, v22
	v_fma_f32 v19, v23, v25, -v19
	s_waitcnt lgkmcnt(4)
	v_mul_f32_e32 v23, v30, v32
	v_fmac_f32_e32 v26, v24, v25
	v_mul_f32_e32 v24, v29, v32
	v_fma_f32 v9, v21, v9, -v0
	v_fmac_f32_e32 v22, v21, v20
	v_fma_f32 v21, v29, v31, -v23
	v_mul_f32_e32 v0, v26, v28
	v_mul_f32_e32 v20, v19, v28
	v_fmac_f32_e32 v24, v30, v31
	s_waitcnt lgkmcnt(1)
	v_mul_f32_e32 v23, v35, v38
	v_mul_f32_e32 v28, v21, v34
	v_fma_f32 v19, v27, v19, -v0
	v_fmac_f32_e32 v20, v27, v26
	v_mul_f32_e32 v0, v24, v34
	v_mul_f32_e32 v25, v36, v38
	v_fmac_f32_e32 v28, v33, v24
	v_fmac_f32_e32 v23, v36, v37
	s_mov_b32 s0, s18
	v_fma_f32 v21, v33, v21, -v0
	v_fma_f32 v25, v35, v37, -v25
	v_cndmask_b32_e32 v16, -1, v16, vcc_lo
	s_waitcnt lgkmcnt(0)
	v_mul_f32_e32 v0, v23, v15
	s_mov_b32 s1, s19
	s_waitcnt vmcnt(1)
	v_mul_f32_e32 v24, v8, v11
	v_mul_f32_e32 v11, v7, v11
	;; [unrolled: 1-line block ×4, first 2 shown]
	s_waitcnt vmcnt(0)
	v_mul_f32_e32 v27, v4, v18
	v_mul_f32_e32 v18, v3, v18
	v_fma_f32 v7, v7, v10, -v24
	v_fmac_f32_e32 v11, v8, v10
	v_fma_f32 v1, v1, v12, -v26
	v_fmac_f32_e32 v13, v2, v12
	;; [unrolled: 2-line block ×3, first 2 shown]
	v_mul_f32_e32 v3, v25, v15
	v_sub_f32_e32 v1, v5, v1
	v_sub_f32_e32 v4, v6, v13
	;; [unrolled: 1-line block ×4, first 2 shown]
	v_fma_f32 v10, v14, v25, -v0
	v_fma_f32 v0, v5, 2.0, -v1
	v_fma_f32 v5, v6, 2.0, -v4
	;; [unrolled: 1-line block ×4, first 2 shown]
	v_add_f32_e32 v2, v4, v2
	v_fmac_f32_e32 v3, v14, v23
	v_sub_f32_e32 v8, v1, v8
	v_sub_f32_e32 v11, v0, v6
	;; [unrolled: 1-line block ×3, first 2 shown]
	v_fma_f32 v4, v4, 2.0, -v2
	v_mul_f32_e32 v7, v2, v3
	v_fma_f32 v6, v1, 2.0, -v8
	v_fma_f32 v13, v0, 2.0, -v11
	;; [unrolled: 1-line block ×3, first 2 shown]
	v_mul_f32_e32 v1, v8, v3
	v_mul_f32_e32 v15, v4, v20
	v_fma_f32 v0, v8, v10, -v7
	v_mul_f32_e32 v7, v13, v22
	v_mul_f32_e32 v8, v14, v22
	;; [unrolled: 1-line block ×5, first 2 shown]
	v_fmac_f32_e32 v1, v2, v10
	v_fma_f32 v2, v6, v19, -v15
	v_fma_f32 v6, v13, v9, -v8
	v_fmac_f32_e32 v7, v14, v9
	v_fmac_f32_e32 v3, v4, v19
	v_fma_f32 v4, v11, v21, -v17
	v_fmac_f32_e32 v5, v12, v21
	buffer_store_dwordx2 v[6:7], v39, s[0:3], s4 offen
	buffer_store_dwordx2 v[2:3], v40, s[0:3], s4 offen
	buffer_store_dwordx2 v[4:5], v41, s[0:3], s4 offen
	buffer_store_dwordx2 v[0:1], v16, s[0:3], s4 offen
	s_endpgm
	.section	.rodata,"a",@progbits
	.p2align	6, 0x0
	.amdhsa_kernel fft_rtc_fwd_len96_factors_8_3_4_wgs_256_tpt_32_sp_op_CI_CI_sbcc_twdbase5_3step_dirReg_intrinsicReadWrite
		.amdhsa_group_segment_fixed_size 0
		.amdhsa_private_segment_fixed_size 0
		.amdhsa_kernarg_size 112
		.amdhsa_user_sgpr_count 6
		.amdhsa_user_sgpr_private_segment_buffer 1
		.amdhsa_user_sgpr_dispatch_ptr 0
		.amdhsa_user_sgpr_queue_ptr 0
		.amdhsa_user_sgpr_kernarg_segment_ptr 1
		.amdhsa_user_sgpr_dispatch_id 0
		.amdhsa_user_sgpr_flat_scratch_init 0
		.amdhsa_user_sgpr_private_segment_size 0
		.amdhsa_wavefront_size32 1
		.amdhsa_uses_dynamic_stack 0
		.amdhsa_system_sgpr_private_segment_wavefront_offset 0
		.amdhsa_system_sgpr_workgroup_id_x 1
		.amdhsa_system_sgpr_workgroup_id_y 0
		.amdhsa_system_sgpr_workgroup_id_z 0
		.amdhsa_system_sgpr_workgroup_info 0
		.amdhsa_system_vgpr_workitem_id 0
		.amdhsa_next_free_vgpr 43
		.amdhsa_next_free_sgpr 52
		.amdhsa_reserve_vcc 1
		.amdhsa_reserve_flat_scratch 0
		.amdhsa_float_round_mode_32 0
		.amdhsa_float_round_mode_16_64 0
		.amdhsa_float_denorm_mode_32 3
		.amdhsa_float_denorm_mode_16_64 3
		.amdhsa_dx10_clamp 1
		.amdhsa_ieee_mode 1
		.amdhsa_fp16_overflow 0
		.amdhsa_workgroup_processor_mode 1
		.amdhsa_memory_ordered 1
		.amdhsa_forward_progress 0
		.amdhsa_shared_vgpr_count 0
		.amdhsa_exception_fp_ieee_invalid_op 0
		.amdhsa_exception_fp_denorm_src 0
		.amdhsa_exception_fp_ieee_div_zero 0
		.amdhsa_exception_fp_ieee_overflow 0
		.amdhsa_exception_fp_ieee_underflow 0
		.amdhsa_exception_fp_ieee_inexact 0
		.amdhsa_exception_int_div_zero 0
	.end_amdhsa_kernel
	.text
.Lfunc_end0:
	.size	fft_rtc_fwd_len96_factors_8_3_4_wgs_256_tpt_32_sp_op_CI_CI_sbcc_twdbase5_3step_dirReg_intrinsicReadWrite, .Lfunc_end0-fft_rtc_fwd_len96_factors_8_3_4_wgs_256_tpt_32_sp_op_CI_CI_sbcc_twdbase5_3step_dirReg_intrinsicReadWrite
                                        ; -- End function
	.section	.AMDGPU.csdata,"",@progbits
; Kernel info:
; codeLenInByte = 3548
; NumSgprs: 54
; NumVgprs: 43
; ScratchSize: 0
; MemoryBound: 0
; FloatMode: 240
; IeeeMode: 1
; LDSByteSize: 0 bytes/workgroup (compile time only)
; SGPRBlocks: 6
; VGPRBlocks: 5
; NumSGPRsForWavesPerEU: 54
; NumVGPRsForWavesPerEU: 43
; Occupancy: 16
; WaveLimiterHint : 0
; COMPUTE_PGM_RSRC2:SCRATCH_EN: 0
; COMPUTE_PGM_RSRC2:USER_SGPR: 6
; COMPUTE_PGM_RSRC2:TRAP_HANDLER: 0
; COMPUTE_PGM_RSRC2:TGID_X_EN: 1
; COMPUTE_PGM_RSRC2:TGID_Y_EN: 0
; COMPUTE_PGM_RSRC2:TGID_Z_EN: 0
; COMPUTE_PGM_RSRC2:TIDIG_COMP_CNT: 0
	.text
	.p2alignl 6, 3214868480
	.fill 48, 4, 3214868480
	.type	__hip_cuid_94984d2b53e99ce1,@object ; @__hip_cuid_94984d2b53e99ce1
	.section	.bss,"aw",@nobits
	.globl	__hip_cuid_94984d2b53e99ce1
__hip_cuid_94984d2b53e99ce1:
	.byte	0                               ; 0x0
	.size	__hip_cuid_94984d2b53e99ce1, 1

	.ident	"AMD clang version 19.0.0git (https://github.com/RadeonOpenCompute/llvm-project roc-6.4.0 25133 c7fe45cf4b819c5991fe208aaa96edf142730f1d)"
	.section	".note.GNU-stack","",@progbits
	.addrsig
	.addrsig_sym __hip_cuid_94984d2b53e99ce1
	.amdgpu_metadata
---
amdhsa.kernels:
  - .args:
      - .actual_access:  read_only
        .address_space:  global
        .offset:         0
        .size:           8
        .value_kind:     global_buffer
      - .address_space:  global
        .offset:         8
        .size:           8
        .value_kind:     global_buffer
      - .offset:         16
        .size:           8
        .value_kind:     by_value
      - .actual_access:  read_only
        .address_space:  global
        .offset:         24
        .size:           8
        .value_kind:     global_buffer
      - .actual_access:  read_only
        .address_space:  global
        .offset:         32
        .size:           8
        .value_kind:     global_buffer
      - .actual_access:  read_only
        .address_space:  global
        .offset:         40
        .size:           8
        .value_kind:     global_buffer
      - .offset:         48
        .size:           8
        .value_kind:     by_value
      - .actual_access:  read_only
        .address_space:  global
        .offset:         56
        .size:           8
        .value_kind:     global_buffer
      - .actual_access:  read_only
        .address_space:  global
        .offset:         64
        .size:           8
        .value_kind:     global_buffer
      - .offset:         72
        .size:           4
        .value_kind:     by_value
      - .actual_access:  read_only
        .address_space:  global
        .offset:         80
        .size:           8
        .value_kind:     global_buffer
      - .actual_access:  read_only
        .address_space:  global
        .offset:         88
        .size:           8
        .value_kind:     global_buffer
      - .address_space:  global
        .offset:         96
        .size:           8
        .value_kind:     global_buffer
      - .address_space:  global
        .offset:         104
        .size:           8
        .value_kind:     global_buffer
    .group_segment_fixed_size: 0
    .kernarg_segment_align: 8
    .kernarg_segment_size: 112
    .language:       OpenCL C
    .language_version:
      - 2
      - 0
    .max_flat_workgroup_size: 256
    .name:           fft_rtc_fwd_len96_factors_8_3_4_wgs_256_tpt_32_sp_op_CI_CI_sbcc_twdbase5_3step_dirReg_intrinsicReadWrite
    .private_segment_fixed_size: 0
    .sgpr_count:     54
    .sgpr_spill_count: 0
    .symbol:         fft_rtc_fwd_len96_factors_8_3_4_wgs_256_tpt_32_sp_op_CI_CI_sbcc_twdbase5_3step_dirReg_intrinsicReadWrite.kd
    .uniform_work_group_size: 1
    .uses_dynamic_stack: false
    .vgpr_count:     43
    .vgpr_spill_count: 0
    .wavefront_size: 32
    .workgroup_processor_mode: 1
amdhsa.target:   amdgcn-amd-amdhsa--gfx1030
amdhsa.version:
  - 1
  - 2
...

	.end_amdgpu_metadata
